;; amdgpu-corpus repo=ROCm/rocFFT kind=compiled arch=gfx1030 opt=O3
	.text
	.amdgcn_target "amdgcn-amd-amdhsa--gfx1030"
	.amdhsa_code_object_version 6
	.protected	fft_rtc_back_len2304_factors_6_6_4_4_4_wgs_192_tpt_192_halfLds_dp_ip_CI_unitstride_sbrr_C2R_dirReg ; -- Begin function fft_rtc_back_len2304_factors_6_6_4_4_4_wgs_192_tpt_192_halfLds_dp_ip_CI_unitstride_sbrr_C2R_dirReg
	.globl	fft_rtc_back_len2304_factors_6_6_4_4_4_wgs_192_tpt_192_halfLds_dp_ip_CI_unitstride_sbrr_C2R_dirReg
	.p2align	8
	.type	fft_rtc_back_len2304_factors_6_6_4_4_4_wgs_192_tpt_192_halfLds_dp_ip_CI_unitstride_sbrr_C2R_dirReg,@function
fft_rtc_back_len2304_factors_6_6_4_4_4_wgs_192_tpt_192_halfLds_dp_ip_CI_unitstride_sbrr_C2R_dirReg: ; @fft_rtc_back_len2304_factors_6_6_4_4_4_wgs_192_tpt_192_halfLds_dp_ip_CI_unitstride_sbrr_C2R_dirReg
; %bb.0:
	s_clause 0x2
	s_load_dwordx4 s[8:11], s[4:5], 0x0
	s_load_dwordx2 s[2:3], s[4:5], 0x50
	s_load_dwordx2 s[12:13], s[4:5], 0x18
	v_mul_u32_u24_e32 v1, 0x156, v0
	v_mov_b32_e32 v3, 0
	v_add_nc_u32_sdwa v5, s6, v1 dst_sel:DWORD dst_unused:UNUSED_PAD src0_sel:DWORD src1_sel:WORD_1
	v_mov_b32_e32 v1, 0
	v_mov_b32_e32 v6, v3
	v_mov_b32_e32 v2, 0
	s_waitcnt lgkmcnt(0)
	v_cmp_lt_u64_e64 s0, s[10:11], 2
	s_and_b32 vcc_lo, exec_lo, s0
	s_cbranch_vccnz .LBB0_8
; %bb.1:
	s_load_dwordx2 s[0:1], s[4:5], 0x10
	v_mov_b32_e32 v1, 0
	s_add_u32 s6, s12, 8
	v_mov_b32_e32 v2, 0
	s_addc_u32 s7, s13, 0
	s_mov_b64 s[16:17], 1
	s_waitcnt lgkmcnt(0)
	s_add_u32 s14, s0, 8
	s_addc_u32 s15, s1, 0
.LBB0_2:                                ; =>This Inner Loop Header: Depth=1
	s_load_dwordx2 s[18:19], s[14:15], 0x0
                                        ; implicit-def: $vgpr7_vgpr8
	s_mov_b32 s0, exec_lo
	s_waitcnt lgkmcnt(0)
	v_or_b32_e32 v4, s19, v6
	v_cmpx_ne_u64_e32 0, v[3:4]
	s_xor_b32 s1, exec_lo, s0
	s_cbranch_execz .LBB0_4
; %bb.3:                                ;   in Loop: Header=BB0_2 Depth=1
	v_cvt_f32_u32_e32 v4, s18
	v_cvt_f32_u32_e32 v7, s19
	s_sub_u32 s0, 0, s18
	s_subb_u32 s20, 0, s19
	v_fmac_f32_e32 v4, 0x4f800000, v7
	v_rcp_f32_e32 v4, v4
	v_mul_f32_e32 v4, 0x5f7ffffc, v4
	v_mul_f32_e32 v7, 0x2f800000, v4
	v_trunc_f32_e32 v7, v7
	v_fmac_f32_e32 v4, 0xcf800000, v7
	v_cvt_u32_f32_e32 v7, v7
	v_cvt_u32_f32_e32 v4, v4
	v_mul_lo_u32 v8, s0, v7
	v_mul_hi_u32 v9, s0, v4
	v_mul_lo_u32 v10, s20, v4
	v_add_nc_u32_e32 v8, v9, v8
	v_mul_lo_u32 v9, s0, v4
	v_add_nc_u32_e32 v8, v8, v10
	v_mul_hi_u32 v10, v4, v9
	v_mul_lo_u32 v11, v4, v8
	v_mul_hi_u32 v12, v4, v8
	v_mul_hi_u32 v13, v7, v9
	v_mul_lo_u32 v9, v7, v9
	v_mul_hi_u32 v14, v7, v8
	v_mul_lo_u32 v8, v7, v8
	v_add_co_u32 v10, vcc_lo, v10, v11
	v_add_co_ci_u32_e32 v11, vcc_lo, 0, v12, vcc_lo
	v_add_co_u32 v9, vcc_lo, v10, v9
	v_add_co_ci_u32_e32 v9, vcc_lo, v11, v13, vcc_lo
	v_add_co_ci_u32_e32 v10, vcc_lo, 0, v14, vcc_lo
	v_add_co_u32 v8, vcc_lo, v9, v8
	v_add_co_ci_u32_e32 v9, vcc_lo, 0, v10, vcc_lo
	v_add_co_u32 v4, vcc_lo, v4, v8
	v_add_co_ci_u32_e32 v7, vcc_lo, v7, v9, vcc_lo
	v_mul_hi_u32 v8, s0, v4
	v_mul_lo_u32 v10, s20, v4
	v_mul_lo_u32 v9, s0, v7
	v_add_nc_u32_e32 v8, v8, v9
	v_mul_lo_u32 v9, s0, v4
	v_add_nc_u32_e32 v8, v8, v10
	v_mul_hi_u32 v10, v4, v9
	v_mul_lo_u32 v11, v4, v8
	v_mul_hi_u32 v12, v4, v8
	v_mul_hi_u32 v13, v7, v9
	v_mul_lo_u32 v9, v7, v9
	v_mul_hi_u32 v14, v7, v8
	v_mul_lo_u32 v8, v7, v8
	v_add_co_u32 v10, vcc_lo, v10, v11
	v_add_co_ci_u32_e32 v11, vcc_lo, 0, v12, vcc_lo
	v_add_co_u32 v9, vcc_lo, v10, v9
	v_add_co_ci_u32_e32 v9, vcc_lo, v11, v13, vcc_lo
	v_add_co_ci_u32_e32 v10, vcc_lo, 0, v14, vcc_lo
	v_add_co_u32 v8, vcc_lo, v9, v8
	v_add_co_ci_u32_e32 v9, vcc_lo, 0, v10, vcc_lo
	v_add_co_u32 v4, vcc_lo, v4, v8
	v_add_co_ci_u32_e32 v11, vcc_lo, v7, v9, vcc_lo
	v_mul_hi_u32 v13, v5, v4
	v_mad_u64_u32 v[9:10], null, v6, v4, 0
	v_mad_u64_u32 v[7:8], null, v5, v11, 0
	;; [unrolled: 1-line block ×3, first 2 shown]
	v_add_co_u32 v4, vcc_lo, v13, v7
	v_add_co_ci_u32_e32 v7, vcc_lo, 0, v8, vcc_lo
	v_add_co_u32 v4, vcc_lo, v4, v9
	v_add_co_ci_u32_e32 v4, vcc_lo, v7, v10, vcc_lo
	v_add_co_ci_u32_e32 v7, vcc_lo, 0, v12, vcc_lo
	v_add_co_u32 v4, vcc_lo, v4, v11
	v_add_co_ci_u32_e32 v9, vcc_lo, 0, v7, vcc_lo
	v_mul_lo_u32 v10, s19, v4
	v_mad_u64_u32 v[7:8], null, s18, v4, 0
	v_mul_lo_u32 v11, s18, v9
	v_sub_co_u32 v7, vcc_lo, v5, v7
	v_add3_u32 v8, v8, v11, v10
	v_sub_nc_u32_e32 v10, v6, v8
	v_subrev_co_ci_u32_e64 v10, s0, s19, v10, vcc_lo
	v_add_co_u32 v11, s0, v4, 2
	v_add_co_ci_u32_e64 v12, s0, 0, v9, s0
	v_sub_co_u32 v13, s0, v7, s18
	v_sub_co_ci_u32_e32 v8, vcc_lo, v6, v8, vcc_lo
	v_subrev_co_ci_u32_e64 v10, s0, 0, v10, s0
	v_cmp_le_u32_e32 vcc_lo, s18, v13
	v_cmp_eq_u32_e64 s0, s19, v8
	v_cndmask_b32_e64 v13, 0, -1, vcc_lo
	v_cmp_le_u32_e32 vcc_lo, s19, v10
	v_cndmask_b32_e64 v14, 0, -1, vcc_lo
	v_cmp_le_u32_e32 vcc_lo, s18, v7
	;; [unrolled: 2-line block ×3, first 2 shown]
	v_cndmask_b32_e64 v15, 0, -1, vcc_lo
	v_cmp_eq_u32_e32 vcc_lo, s19, v10
	v_cndmask_b32_e64 v7, v15, v7, s0
	v_cndmask_b32_e32 v10, v14, v13, vcc_lo
	v_add_co_u32 v13, vcc_lo, v4, 1
	v_add_co_ci_u32_e32 v14, vcc_lo, 0, v9, vcc_lo
	v_cmp_ne_u32_e32 vcc_lo, 0, v10
	v_cndmask_b32_e32 v8, v14, v12, vcc_lo
	v_cndmask_b32_e32 v10, v13, v11, vcc_lo
	v_cmp_ne_u32_e32 vcc_lo, 0, v7
	v_cndmask_b32_e32 v8, v9, v8, vcc_lo
	v_cndmask_b32_e32 v7, v4, v10, vcc_lo
.LBB0_4:                                ;   in Loop: Header=BB0_2 Depth=1
	s_andn2_saveexec_b32 s0, s1
	s_cbranch_execz .LBB0_6
; %bb.5:                                ;   in Loop: Header=BB0_2 Depth=1
	v_cvt_f32_u32_e32 v4, s18
	s_sub_i32 s1, 0, s18
	v_rcp_iflag_f32_e32 v4, v4
	v_mul_f32_e32 v4, 0x4f7ffffe, v4
	v_cvt_u32_f32_e32 v4, v4
	v_mul_lo_u32 v7, s1, v4
	v_mul_hi_u32 v7, v4, v7
	v_add_nc_u32_e32 v4, v4, v7
	v_mul_hi_u32 v4, v5, v4
	v_mul_lo_u32 v7, v4, s18
	v_add_nc_u32_e32 v8, 1, v4
	v_sub_nc_u32_e32 v7, v5, v7
	v_subrev_nc_u32_e32 v9, s18, v7
	v_cmp_le_u32_e32 vcc_lo, s18, v7
	v_cndmask_b32_e32 v7, v7, v9, vcc_lo
	v_cndmask_b32_e32 v4, v4, v8, vcc_lo
	v_cmp_le_u32_e32 vcc_lo, s18, v7
	v_add_nc_u32_e32 v8, 1, v4
	v_cndmask_b32_e32 v7, v4, v8, vcc_lo
	v_mov_b32_e32 v8, v3
.LBB0_6:                                ;   in Loop: Header=BB0_2 Depth=1
	s_or_b32 exec_lo, exec_lo, s0
	s_load_dwordx2 s[0:1], s[6:7], 0x0
	v_mul_lo_u32 v4, v8, s18
	v_mul_lo_u32 v11, v7, s19
	v_mad_u64_u32 v[9:10], null, v7, s18, 0
	s_add_u32 s16, s16, 1
	s_addc_u32 s17, s17, 0
	s_add_u32 s6, s6, 8
	s_addc_u32 s7, s7, 0
	;; [unrolled: 2-line block ×3, first 2 shown]
	v_add3_u32 v4, v10, v11, v4
	v_sub_co_u32 v5, vcc_lo, v5, v9
	v_sub_co_ci_u32_e32 v4, vcc_lo, v6, v4, vcc_lo
	s_waitcnt lgkmcnt(0)
	v_mul_lo_u32 v6, s1, v5
	v_mul_lo_u32 v4, s0, v4
	v_mad_u64_u32 v[1:2], null, s0, v5, v[1:2]
	v_cmp_ge_u64_e64 s0, s[16:17], s[10:11]
	s_and_b32 vcc_lo, exec_lo, s0
	v_add3_u32 v2, v6, v2, v4
	s_cbranch_vccnz .LBB0_9
; %bb.7:                                ;   in Loop: Header=BB0_2 Depth=1
	v_mov_b32_e32 v5, v7
	v_mov_b32_e32 v6, v8
	s_branch .LBB0_2
.LBB0_8:
	v_mov_b32_e32 v8, v6
	v_mov_b32_e32 v7, v5
.LBB0_9:
	s_lshl_b64 s[0:1], s[10:11], 3
	v_mul_hi_u32 v5, 0x1555556, v0
	s_add_u32 s0, s12, s0
	s_addc_u32 s1, s13, s1
	s_load_dwordx2 s[0:1], s[0:1], 0x0
	s_load_dwordx2 s[4:5], s[4:5], 0x20
	s_waitcnt lgkmcnt(0)
	v_mul_lo_u32 v3, s0, v8
	v_mul_lo_u32 v4, s1, v7
	v_mad_u64_u32 v[1:2], null, s0, v7, v[1:2]
	v_cmp_gt_u64_e32 vcc_lo, s[4:5], v[7:8]
	v_add3_u32 v2, v4, v2, v3
	v_mul_u32_u24_e32 v3, 0xc0, v5
	v_lshlrev_b64 v[6:7], 4, v[1:2]
	v_sub_nc_u32_e32 v4, v0, v3
	s_and_saveexec_b32 s1, vcc_lo
	s_cbranch_execz .LBB0_13
; %bb.10:
	v_mov_b32_e32 v5, 0
	v_add_co_u32 v0, s0, s2, v6
	v_add_co_ci_u32_e64 v1, s0, s3, v7, s0
	v_lshlrev_b64 v[2:3], 4, v[4:5]
	v_or_b32_e32 v8, 0x300, v4
	v_mov_b32_e32 v9, v5
	v_or_b32_e32 v32, 0x600, v4
	v_mov_b32_e32 v33, v5
	s_mov_b32 s4, exec_lo
	v_add_co_u32 v2, s0, v0, v2
	v_add_co_ci_u32_e64 v3, s0, v1, v3, s0
	v_lshlrev_b64 v[8:9], 4, v[8:9]
	v_add_co_u32 v12, s0, 0x800, v2
	v_add_co_ci_u32_e64 v13, s0, 0, v3, s0
	v_add_co_u32 v16, s0, 0x1800, v2
	v_add_co_ci_u32_e64 v17, s0, 0, v3, s0
	v_add_co_u32 v20, s0, 0x2000, v2
	v_add_co_ci_u32_e64 v21, s0, 0, v3, s0
	v_add_co_u32 v24, s0, v0, v8
	v_add_co_ci_u32_e64 v25, s0, v1, v9, s0
	v_add_co_u32 v28, s0, 0x3800, v2
	v_add_co_ci_u32_e64 v29, s0, 0, v3, s0
	v_add_co_u32 v34, s0, 0x4800, v2
	v_lshlrev_b64 v[32:33], 4, v[32:33]
	v_add_co_ci_u32_e64 v35, s0, 0, v3, s0
	v_add_co_u32 v36, s0, 0x5000, v2
	v_add_co_ci_u32_e64 v37, s0, 0, v3, s0
	v_add_co_u32 v40, s0, v0, v32
	;; [unrolled: 2-line block ×4, first 2 shown]
	v_add_co_ci_u32_e64 v49, s0, 0, v3, s0
	s_clause 0x5
	global_load_dwordx4 v[8:11], v[2:3], off
	global_load_dwordx4 v[12:15], v[12:13], off offset:1024
	global_load_dwordx4 v[16:19], v[16:17], off
	global_load_dwordx4 v[20:23], v[20:21], off offset:1024
	;; [unrolled: 2-line block ×3, first 2 shown]
	v_add_co_u32 v2, s0, 0x8000, v2
	v_add_co_ci_u32_e64 v3, s0, 0, v3, s0
	s_clause 0x5
	global_load_dwordx4 v[32:35], v[34:35], off
	global_load_dwordx4 v[36:39], v[36:37], off offset:1024
	global_load_dwordx4 v[40:43], v[40:41], off
	global_load_dwordx4 v[44:47], v[44:45], off offset:1024
	;; [unrolled: 2-line block ×3, first 2 shown]
	v_lshl_add_u32 v2, v4, 4, 0
	s_waitcnt vmcnt(11)
	ds_write_b128 v2, v[8:11]
	s_waitcnt vmcnt(10)
	ds_write_b128 v2, v[12:15] offset:3072
	s_waitcnt vmcnt(9)
	ds_write_b128 v2, v[16:19] offset:6144
	;; [unrolled: 2-line block ×11, first 2 shown]
	v_cmpx_eq_u32_e32 0xbf, v4
	s_cbranch_execz .LBB0_12
; %bb.11:
	v_add_co_u32 v0, s0, 0x9000, v0
	v_add_co_ci_u32_e64 v1, s0, 0, v1, s0
	v_mov_b32_e32 v4, 0xbf
	global_load_dwordx4 v[0:3], v[0:1], off
	s_waitcnt vmcnt(0)
	ds_write_b128 v5, v[0:3] offset:36864
.LBB0_12:
	s_or_b32 exec_lo, exec_lo, s4
.LBB0_13:
	s_or_b32 exec_lo, exec_lo, s1
	v_lshlrev_b32_e32 v0, 4, v4
	s_waitcnt lgkmcnt(0)
	s_barrier
	buffer_gl0_inv
	s_add_u32 s1, s8, 0x8fa0
	v_add_nc_u32_e32 v12, 0, v0
	v_sub_nc_u32_e32 v13, 0, v0
	s_addc_u32 s4, s9, 0
	s_mov_b32 s5, exec_lo
	ds_read_b64 v[8:9], v12
	ds_read_b64 v[10:11], v13 offset:36864
	s_waitcnt lgkmcnt(0)
	v_add_f64 v[0:1], v[8:9], v[10:11]
	v_add_f64 v[2:3], v[8:9], -v[10:11]
	v_cmpx_ne_u32_e32 0, v4
	s_xor_b32 s5, exec_lo, s5
	s_cbranch_execz .LBB0_15
; %bb.14:
	v_mov_b32_e32 v5, 0
	v_add_f64 v[18:19], v[8:9], v[10:11]
	v_add_f64 v[20:21], v[8:9], -v[10:11]
	v_lshlrev_b64 v[0:1], 4, v[4:5]
	v_add_co_u32 v0, s0, s1, v0
	v_add_co_ci_u32_e64 v1, s0, s4, v1, s0
	global_load_dwordx4 v[14:17], v[0:1], off
	ds_read_b64 v[0:1], v13 offset:36872
	ds_read_b64 v[2:3], v12 offset:8
	s_waitcnt lgkmcnt(0)
	v_add_f64 v[8:9], v[0:1], v[2:3]
	v_add_f64 v[0:1], v[2:3], -v[0:1]
	s_waitcnt vmcnt(0)
	v_fma_f64 v[2:3], v[20:21], v[16:17], v[18:19]
	v_fma_f64 v[10:11], -v[20:21], v[16:17], v[18:19]
	v_fma_f64 v[18:19], v[8:9], v[16:17], -v[0:1]
	v_fma_f64 v[16:17], v[8:9], v[16:17], v[0:1]
	v_fma_f64 v[0:1], -v[8:9], v[14:15], v[2:3]
	v_fma_f64 v[8:9], v[8:9], v[14:15], v[10:11]
	v_fma_f64 v[10:11], v[20:21], v[14:15], v[18:19]
	;; [unrolled: 1-line block ×3, first 2 shown]
	ds_write_b128 v13, v[8:11] offset:36864
.LBB0_15:
	s_andn2_saveexec_b32 s0, s5
	s_cbranch_execz .LBB0_17
; %bb.16:
	v_mov_b32_e32 v5, 0
	ds_read_b128 v[8:11], v5 offset:18432
	s_waitcnt lgkmcnt(0)
	v_add_f64 v[8:9], v[8:9], v[8:9]
	v_mul_f64 v[10:11], v[10:11], -2.0
	ds_write_b128 v5, v[8:11] offset:18432
.LBB0_17:
	s_or_b32 exec_lo, exec_lo, s0
	v_add_nc_u32_e32 v8, 0xc0, v4
	v_mov_b32_e32 v9, 0
	v_add_nc_u32_e32 v22, 0x240, v4
	v_or_b32_e32 v26, 0x300, v4
	ds_write_b128 v12, v[0:3]
	v_lshlrev_b64 v[10:11], 4, v[8:9]
	v_mov_b32_e32 v23, v9
	v_mov_b32_e32 v27, v9
	v_lshlrev_b64 v[22:23], 4, v[22:23]
	v_add_co_u32 v10, s0, s1, v10
	v_add_co_ci_u32_e64 v11, s0, s4, v11, s0
	v_lshlrev_b64 v[26:27], 4, v[26:27]
	global_load_dwordx4 v[14:17], v[10:11], off
	v_add_nc_u32_e32 v10, 0x180, v4
	v_mov_b32_e32 v11, v9
	v_lshlrev_b64 v[18:19], 4, v[10:11]
	v_mad_u32_u24 v11, 0x50, v4, v12
	v_add_co_u32 v18, s0, s1, v18
	v_add_co_ci_u32_e64 v19, s0, s4, v19, s0
	v_add_co_u32 v22, s0, s1, v22
	v_add_co_ci_u32_e64 v23, s0, s4, v23, s0
	global_load_dwordx4 v[18:21], v[18:19], off
	v_add_co_u32 v30, s0, s1, v26
	global_load_dwordx4 v[22:25], v[22:23], off
	v_add_co_ci_u32_e64 v31, s0, s4, v27, s0
	ds_read_b128 v[0:3], v12 offset:3072
	ds_read_b128 v[26:29], v13 offset:33792
	global_load_dwordx4 v[30:33], v[30:31], off
	s_waitcnt lgkmcnt(0)
	v_add_f64 v[34:35], v[0:1], v[26:27]
	v_add_f64 v[36:37], v[28:29], v[2:3]
	v_add_f64 v[38:39], v[0:1], -v[26:27]
	v_add_f64 v[0:1], v[2:3], -v[28:29]
	s_waitcnt vmcnt(3)
	v_fma_f64 v[2:3], v[38:39], v[16:17], v[34:35]
	v_fma_f64 v[26:27], v[36:37], v[16:17], v[0:1]
	v_fma_f64 v[28:29], -v[38:39], v[16:17], v[34:35]
	v_fma_f64 v[16:17], v[36:37], v[16:17], -v[0:1]
	v_fma_f64 v[0:1], -v[36:37], v[14:15], v[2:3]
	v_fma_f64 v[2:3], v[38:39], v[14:15], v[26:27]
	v_fma_f64 v[26:27], v[36:37], v[14:15], v[28:29]
	;; [unrolled: 1-line block ×3, first 2 shown]
	v_add_nc_u32_e32 v14, 0x3c0, v4
	v_mov_b32_e32 v15, v9
	ds_write_b128 v12, v[0:3] offset:3072
	ds_write_b128 v13, v[26:29] offset:33792
	v_lshlrev_b64 v[14:15], 4, v[14:15]
	v_add_co_u32 v34, s0, s1, v14
	v_add_co_ci_u32_e64 v35, s0, s4, v15, s0
	ds_read_b128 v[0:3], v12 offset:6144
	ds_read_b128 v[14:17], v13 offset:30720
	s_mov_b32 s4, 0xe8584caa
	s_mov_b32 s5, 0xbfebb67a
	global_load_dwordx4 v[26:29], v[34:35], off
	s_mov_b32 s1, 0x3febb67a
	s_mov_b32 s0, s4
	s_waitcnt lgkmcnt(0)
	v_add_f64 v[34:35], v[0:1], v[14:15]
	v_add_f64 v[36:37], v[16:17], v[2:3]
	v_add_f64 v[38:39], v[0:1], -v[14:15]
	v_add_f64 v[0:1], v[2:3], -v[16:17]
	s_waitcnt vmcnt(3)
	v_fma_f64 v[2:3], v[38:39], v[20:21], v[34:35]
	v_fma_f64 v[14:15], v[36:37], v[20:21], v[0:1]
	v_fma_f64 v[16:17], -v[38:39], v[20:21], v[34:35]
	v_fma_f64 v[20:21], v[36:37], v[20:21], -v[0:1]
	v_fma_f64 v[0:1], -v[36:37], v[18:19], v[2:3]
	v_fma_f64 v[2:3], v[38:39], v[18:19], v[14:15]
	v_fma_f64 v[14:15], v[36:37], v[18:19], v[16:17]
	v_fma_f64 v[16:17], v[38:39], v[18:19], v[20:21]
	ds_write_b128 v12, v[0:3] offset:6144
	ds_write_b128 v13, v[14:17] offset:30720
	ds_read_b128 v[0:3], v12 offset:9216
	ds_read_b128 v[14:17], v13 offset:27648
	s_waitcnt lgkmcnt(0)
	v_add_f64 v[18:19], v[0:1], v[14:15]
	v_add_f64 v[20:21], v[16:17], v[2:3]
	v_add_f64 v[34:35], v[0:1], -v[14:15]
	v_add_f64 v[0:1], v[2:3], -v[16:17]
	s_waitcnt vmcnt(2)
	v_fma_f64 v[2:3], v[34:35], v[24:25], v[18:19]
	v_fma_f64 v[14:15], v[20:21], v[24:25], v[0:1]
	v_fma_f64 v[16:17], -v[34:35], v[24:25], v[18:19]
	v_fma_f64 v[18:19], v[20:21], v[24:25], -v[0:1]
	v_fma_f64 v[0:1], -v[20:21], v[22:23], v[2:3]
	v_fma_f64 v[2:3], v[34:35], v[22:23], v[14:15]
	v_fma_f64 v[14:15], v[20:21], v[22:23], v[16:17]
	v_fma_f64 v[16:17], v[34:35], v[22:23], v[18:19]
	ds_write_b128 v12, v[0:3] offset:9216
	ds_write_b128 v13, v[14:17] offset:27648
	ds_read_b128 v[0:3], v12 offset:12288
	ds_read_b128 v[14:17], v13 offset:24576
	;; [unrolled: 18-line block ×3, first 2 shown]
	s_waitcnt lgkmcnt(0)
	v_add_f64 v[18:19], v[0:1], v[14:15]
	v_add_f64 v[20:21], v[16:17], v[2:3]
	v_add_f64 v[22:23], v[0:1], -v[14:15]
	v_add_f64 v[0:1], v[2:3], -v[16:17]
	s_waitcnt vmcnt(0)
	v_fma_f64 v[2:3], v[22:23], v[28:29], v[18:19]
	v_fma_f64 v[14:15], v[20:21], v[28:29], v[0:1]
	v_fma_f64 v[16:17], -v[22:23], v[28:29], v[18:19]
	v_fma_f64 v[18:19], v[20:21], v[28:29], -v[0:1]
	v_fma_f64 v[0:1], -v[20:21], v[26:27], v[2:3]
	v_fma_f64 v[2:3], v[22:23], v[26:27], v[14:15]
	v_fma_f64 v[14:15], v[20:21], v[26:27], v[16:17]
	v_fma_f64 v[16:17], v[22:23], v[26:27], v[18:19]
	ds_write_b128 v12, v[0:3] offset:15360
	ds_write_b128 v13, v[14:17] offset:21504
	s_waitcnt lgkmcnt(0)
	s_barrier
	buffer_gl0_inv
	s_barrier
	buffer_gl0_inv
	ds_read_b128 v[13:16], v12 offset:18432
	ds_read_b128 v[17:20], v12 offset:30720
	;; [unrolled: 1-line block ×4, first 2 shown]
	ds_read_b128 v[29:32], v12
	ds_read_b128 v[0:3], v12 offset:12288
	ds_read_b128 v[33:36], v12 offset:15360
	;; [unrolled: 1-line block ×7, first 2 shown]
	s_waitcnt lgkmcnt(0)
	s_barrier
	buffer_gl0_inv
	v_add_f64 v[57:58], v[15:16], v[19:20]
	v_add_f64 v[65:66], v[13:14], v[17:18]
	;; [unrolled: 1-line block ×3, first 2 shown]
	v_add_f64 v[67:68], v[13:14], -v[17:18]
	v_add_f64 v[61:62], v[29:30], v[0:1]
	v_add_f64 v[63:64], v[31:32], v[2:3]
	;; [unrolled: 1-line block ×5, first 2 shown]
	v_add_f64 v[75:76], v[2:3], -v[47:48]
	v_add_f64 v[77:78], v[0:1], -v[45:46]
	;; [unrolled: 1-line block ×3, first 2 shown]
	v_add_f64 v[13:14], v[41:42], v[13:14]
	v_add_f64 v[25:26], v[49:50], v[25:26]
	v_and_b32_e32 v0, 0xff, v4
	v_mul_lo_u16 v3, 0xab, v0
	v_mul_lo_u16 v0, v0, 57
	v_fma_f64 v[57:58], v[57:58], -0.5, v[43:44]
	v_add_f64 v[43:44], v[43:44], v[15:16]
	v_fma_f64 v[59:60], v[59:60], -0.5, v[51:52]
	v_add_f64 v[15:16], v[15:16], -v[19:20]
	v_add_f64 v[45:46], v[61:62], v[45:46]
	v_fma_f64 v[41:42], v[65:66], -0.5, v[41:42]
	v_add_f64 v[47:48], v[63:64], v[47:48]
	v_add_f64 v[63:64], v[33:34], v[37:38]
	v_fma_f64 v[49:50], v[73:74], -0.5, v[49:50]
	v_add_f64 v[51:52], v[51:52], v[27:28]
	v_add_f64 v[65:66], v[35:36], v[39:40]
	v_add_f64 v[27:28], v[27:28], -v[23:24]
	v_fma_f64 v[29:30], v[69:70], -0.5, v[29:30]
	v_add_f64 v[69:70], v[55:56], v[35:36]
	v_fma_f64 v[31:32], v[71:72], -0.5, v[31:32]
	v_add_f64 v[17:18], v[13:14], v[17:18]
	v_add_f64 v[35:36], v[35:36], -v[39:40]
	v_add_f64 v[25:26], v[25:26], v[21:22]
	v_lshrrev_b16 v3, 10, v3
	v_fma_f64 v[61:62], v[67:68], s[0:1], v[57:58]
	v_fma_f64 v[57:58], v[67:68], s[4:5], v[57:58]
	;; [unrolled: 1-line block ×4, first 2 shown]
	v_add_f64 v[59:60], v[53:54], v[33:34]
	v_add_f64 v[19:20], v[43:44], v[19:20]
	v_fma_f64 v[13:14], v[15:16], s[4:5], v[41:42]
	v_fma_f64 v[15:16], v[15:16], s[0:1], v[41:42]
	v_add_f64 v[33:34], v[33:34], -v[37:38]
	v_fma_f64 v[53:54], v[63:64], -0.5, v[53:54]
	v_fma_f64 v[55:56], v[65:66], -0.5, v[55:56]
	v_fma_f64 v[63:64], v[27:28], s[4:5], v[49:50]
	v_fma_f64 v[27:28], v[27:28], s[0:1], v[49:50]
	v_add_f64 v[39:40], v[69:70], v[39:40]
	v_add_f64 v[51:52], v[51:52], v[23:24]
	v_fma_f64 v[69:70], v[77:78], s[0:1], v[31:32]
	v_fma_f64 v[73:74], v[75:76], s[0:1], v[29:30]
	v_mul_lo_u16 v5, v3, 6
	v_mul_f64 v[43:44], v[61:62], s[4:5]
	v_mul_f64 v[61:62], v[61:62], 0.5
	v_mul_f64 v[41:42], v[57:58], s[4:5]
	v_mul_f64 v[57:58], v[57:58], -0.5
	v_mul_f64 v[65:66], v[67:68], s[4:5]
	v_mul_f64 v[67:68], v[67:68], 0.5
	v_mul_f64 v[49:50], v[1:2], s[4:5]
	v_mul_f64 v[71:72], v[1:2], -0.5
	v_add_f64 v[37:38], v[59:60], v[37:38]
	v_fma_f64 v[59:60], v[75:76], s[4:5], v[29:30]
	v_fma_f64 v[75:76], v[77:78], s[4:5], v[31:32]
	;; [unrolled: 1-line block ×5, first 2 shown]
	v_add_f64 v[23:24], v[39:40], v[51:52]
	v_mov_b32_e32 v1, 5
	v_sub_nc_u16 v2, v4, v5
	v_mul_u32_u24_sdwa v5, v2, v1 dst_sel:DWORD dst_unused:UNUSED_PAD src0_sel:BYTE_0 src1_sel:DWORD
	v_fma_f64 v[43:44], v[13:14], 0.5, v[43:44]
	v_fma_f64 v[61:62], v[13:14], s[0:1], v[61:62]
	v_fma_f64 v[41:42], v[15:16], -0.5, v[41:42]
	v_fma_f64 v[57:58], v[15:16], s[0:1], v[57:58]
	v_fma_f64 v[65:66], v[63:64], 0.5, v[65:66]
	v_fma_f64 v[63:64], v[63:64], s[0:1], v[67:68]
	v_fma_f64 v[67:68], v[35:36], s[0:1], v[53:54]
	v_fma_f64 v[83:84], v[27:28], -0.5, v[49:50]
	v_fma_f64 v[71:72], v[27:28], s[0:1], v[71:72]
	v_add_f64 v[13:14], v[45:46], v[17:18]
	v_add_f64 v[15:16], v[47:48], v[19:20]
	v_add_f64 v[17:18], v[45:46], -v[17:18]
	v_add_f64 v[19:20], v[47:48], -v[19:20]
	v_add_f64 v[21:22], v[37:38], v[25:26]
	v_add_f64 v[25:26], v[37:38], -v[25:26]
	v_add_f64 v[27:28], v[39:40], -v[51:52]
	v_lshlrev_b32_e32 v5, 4, v5
	v_add_f64 v[29:30], v[59:60], v[43:44]
	v_add_f64 v[31:32], v[69:70], v[61:62]
	;; [unrolled: 1-line block ×4, first 2 shown]
	v_add_f64 v[33:34], v[59:60], -v[43:44]
	v_add_f64 v[35:36], v[69:70], -v[61:62]
	;; [unrolled: 1-line block ×4, first 2 shown]
	v_add_f64 v[45:46], v[77:78], v[65:66]
	v_add_f64 v[47:48], v[79:80], v[63:64]
	;; [unrolled: 1-line block ×4, first 2 shown]
	v_add_f64 v[49:50], v[77:78], -v[65:66]
	v_add_f64 v[51:52], v[79:80], -v[63:64]
	;; [unrolled: 1-line block ×4, first 2 shown]
	ds_write_b128 v11, v[13:16]
	ds_write_b128 v11, v[17:20] offset:48
	ds_write_b128 v11, v[21:24] offset:18432
	;; [unrolled: 1-line block ×11, first 2 shown]
	s_waitcnt lgkmcnt(0)
	s_barrier
	buffer_gl0_inv
	s_clause 0x4
	global_load_dwordx4 v[14:17], v5, s[8:9]
	global_load_dwordx4 v[18:21], v5, s[8:9] offset:16
	global_load_dwordx4 v[22:25], v5, s[8:9] offset:32
	;; [unrolled: 1-line block ×4, first 2 shown]
	v_mov_b32_e32 v5, 0xaaab
	ds_read_b128 v[34:37], v12 offset:6144
	ds_read_b128 v[38:41], v12 offset:12288
	;; [unrolled: 1-line block ×6, first 2 shown]
	v_mul_u32_u24_sdwa v5, v8, v5 dst_sel:DWORD dst_unused:UNUSED_PAD src0_sel:WORD_0 src1_sel:DWORD
	ds_read_b128 v[62:65], v12 offset:15360
	v_mov_b32_e32 v78, 0x240
	v_lshrrev_b32_e32 v11, 18, v5
	v_mul_u32_u24_sdwa v90, v3, v78 dst_sel:DWORD dst_unused:UNUSED_PAD src0_sel:WORD_0 src1_sel:DWORD
	v_mul_lo_u16 v5, v11, 6
	v_mul_u32_u24_e32 v11, 0x240, v11
	v_sub_nc_u16 v13, v8, v5
	v_lshrrev_b16 v5, 11, v0
	v_mov_b32_e32 v0, 4
	v_mul_u32_u24_sdwa v1, v13, v1 dst_sel:DWORD dst_unused:UNUSED_PAD src0_sel:WORD_0 src1_sel:DWORD
	v_lshlrev_b32_sdwa v2, v0, v2 dst_sel:DWORD dst_unused:UNUSED_PAD src0_sel:DWORD src1_sel:BYTE_0
	v_lshlrev_b32_sdwa v13, v0, v13 dst_sel:DWORD dst_unused:UNUSED_PAD src0_sel:DWORD src1_sel:WORD_0
	v_lshlrev_b32_e32 v1, 4, v1
	v_add3_u32 v2, 0, v90, v2
	v_add3_u32 v11, 0, v11, v13
	global_load_dwordx4 v[58:61], v1, s[8:9]
	s_waitcnt vmcnt(5) lgkmcnt(6)
	v_mul_f64 v[66:67], v[36:37], v[16:17]
	s_waitcnt vmcnt(4) lgkmcnt(5)
	v_mul_f64 v[68:69], v[40:41], v[20:21]
	v_mul_f64 v[20:21], v[38:39], v[20:21]
	s_waitcnt vmcnt(3) lgkmcnt(4)
	v_mul_f64 v[70:71], v[44:45], v[24:25]
	v_mul_f64 v[24:25], v[42:43], v[24:25]
	;; [unrolled: 1-line block ×3, first 2 shown]
	s_waitcnt vmcnt(2) lgkmcnt(2)
	v_mul_f64 v[74:75], v[52:53], v[28:29]
	v_mul_f64 v[28:29], v[50:51], v[28:29]
	v_fma_f64 v[66:67], v[34:35], v[14:15], v[66:67]
	v_fma_f64 v[38:39], v[38:39], v[18:19], v[68:69]
	v_fma_f64 v[40:41], v[40:41], v[18:19], -v[20:21]
	ds_read_b128 v[18:21], v12 offset:30720
	v_fma_f64 v[42:43], v[42:43], v[22:23], v[70:71]
	v_fma_f64 v[44:45], v[44:45], v[22:23], -v[24:25]
	global_load_dwordx4 v[22:25], v1, s[8:9] offset:16
	v_fma_f64 v[72:73], v[36:37], v[14:15], -v[16:17]
	ds_read_b128 v[34:37], v12 offset:27648
	v_fma_f64 v[50:51], v[50:51], v[26:27], v[74:75]
	v_fma_f64 v[52:53], v[52:53], v[26:27], -v[28:29]
	global_load_dwordx4 v[26:29], v1, s[8:9] offset:48
	ds_read_b128 v[14:17], v12 offset:21504
	s_waitcnt vmcnt(2) lgkmcnt(4)
	v_mul_f64 v[74:75], v[56:57], v[60:61]
	v_mul_f64 v[60:61], v[54:55], v[60:61]
	s_waitcnt lgkmcnt(2)
	v_mul_f64 v[68:69], v[20:21], v[32:33]
	v_mul_f64 v[32:33], v[18:19], v[32:33]
	v_fma_f64 v[54:55], v[54:55], v[58:59], v[74:75]
	v_fma_f64 v[56:57], v[56:57], v[58:59], -v[60:61]
	v_fma_f64 v[68:69], v[18:19], v[30:31], v[68:69]
	v_fma_f64 v[70:71], v[20:21], v[30:31], -v[32:33]
	s_clause 0x1
	global_load_dwordx4 v[18:21], v1, s[8:9] offset:32
	global_load_dwordx4 v[30:33], v1, s[8:9] offset:64
	v_mov_b32_e32 v1, 3
	s_waitcnt vmcnt(3)
	v_mul_f64 v[58:59], v[64:65], v[24:25]
	v_mul_f64 v[24:25], v[62:63], v[24:25]
	s_waitcnt vmcnt(2) lgkmcnt(1)
	v_mul_f64 v[60:61], v[36:37], v[28:29]
	v_mul_f64 v[28:29], v[34:35], v[28:29]
	v_fma_f64 v[58:59], v[62:63], v[22:23], v[58:59]
	v_fma_f64 v[62:63], v[64:65], v[22:23], -v[24:25]
	ds_read_b128 v[22:25], v12 offset:33792
	v_fma_f64 v[34:35], v[34:35], v[26:27], v[60:61]
	v_fma_f64 v[36:37], v[36:37], v[26:27], -v[28:29]
	ds_read_b128 v[26:29], v12
	s_waitcnt vmcnt(0) lgkmcnt(0)
	s_barrier
	buffer_gl0_inv
	v_mul_f64 v[64:65], v[16:17], v[20:21]
	v_mul_f64 v[20:21], v[14:15], v[20:21]
	;; [unrolled: 1-line block ×4, first 2 shown]
	v_add_f64 v[76:77], v[46:47], v[58:59]
	v_add_f64 v[74:75], v[28:29], v[40:41]
	v_fma_f64 v[14:15], v[14:15], v[18:19], v[64:65]
	v_fma_f64 v[16:17], v[16:17], v[18:19], -v[20:21]
	v_add_f64 v[18:19], v[38:39], v[50:51]
	v_add_f64 v[20:21], v[40:41], v[52:53]
	v_fma_f64 v[22:23], v[22:23], v[30:31], v[60:61]
	v_fma_f64 v[24:25], v[24:25], v[30:31], -v[32:33]
	v_add_f64 v[30:31], v[58:59], v[34:35]
	v_add_f64 v[32:33], v[44:45], v[70:71]
	;; [unrolled: 1-line block ×4, first 2 shown]
	v_add_f64 v[38:39], v[38:39], -v[50:51]
	v_add_f64 v[40:41], v[40:41], -v[52:53]
	;; [unrolled: 1-line block ×3, first 2 shown]
	v_add_f64 v[52:53], v[74:75], v[52:53]
	v_mul_lo_u16 v74, v5, 36
	v_add_f64 v[34:35], v[76:77], v[34:35]
	v_sub_nc_u16 v3, v4, v74
	v_fma_f64 v[18:19], v[18:19], -0.5, v[26:27]
	v_fma_f64 v[20:21], v[20:21], -0.5, v[28:29]
	v_add_f64 v[26:27], v[42:43], v[68:69]
	v_add_f64 v[28:29], v[42:43], -v[68:69]
	v_fma_f64 v[30:31], v[30:31], -0.5, v[46:47]
	v_fma_f64 v[32:33], v[32:33], -0.5, v[72:73]
	;; [unrolled: 1-line block ×3, first 2 shown]
	v_add_f64 v[60:61], v[16:17], v[24:25]
	v_add_f64 v[42:43], v[66:67], v[42:43]
	v_add_f64 v[50:51], v[64:65], v[50:51]
	v_add_f64 v[64:65], v[14:15], v[22:23]
	v_add_f64 v[72:73], v[72:73], v[44:45]
	v_add_f64 v[44:45], v[44:45], -v[70:71]
	v_add_f64 v[48:49], v[48:49], v[62:63]
	v_fma_f64 v[76:77], v[40:41], s[4:5], v[18:19]
	v_fma_f64 v[78:79], v[40:41], s[0:1], v[18:19]
	v_fma_f64 v[26:27], v[26:27], -0.5, v[66:67]
	v_fma_f64 v[40:41], v[38:39], s[0:1], v[20:21]
	v_fma_f64 v[66:67], v[28:29], s[0:1], v[32:33]
	v_fma_f64 v[28:29], v[28:29], s[4:5], v[32:33]
	v_add_f64 v[32:33], v[14:15], -v[22:23]
	v_fma_f64 v[60:61], v[60:61], -0.5, v[56:57]
	v_add_f64 v[14:15], v[54:55], v[14:15]
	v_add_f64 v[56:57], v[56:57], v[16:17]
	v_add_f64 v[16:17], v[16:17], -v[24:25]
	v_fma_f64 v[54:55], v[64:65], -0.5, v[54:55]
	v_add_f64 v[42:43], v[42:43], v[68:69]
	v_fma_f64 v[84:85], v[58:59], s[0:1], v[46:47]
	v_fma_f64 v[86:87], v[58:59], s[4:5], v[46:47]
	v_fma_f64 v[68:69], v[44:45], s[4:5], v[26:27]
	v_fma_f64 v[26:27], v[44:45], s[0:1], v[26:27]
	v_mul_f64 v[44:45], v[28:29], s[4:5]
	v_mul_f64 v[28:29], v[28:29], -0.5
	v_fma_f64 v[64:65], v[32:33], s[0:1], v[60:61]
	v_fma_f64 v[32:33], v[32:33], s[4:5], v[60:61]
	v_add_f64 v[60:61], v[62:63], -v[36:37]
	v_add_f64 v[62:63], v[72:73], v[70:71]
	v_mul_f64 v[70:71], v[66:67], s[4:5]
	v_mul_f64 v[66:67], v[66:67], 0.5
	v_add_f64 v[36:37], v[48:49], v[36:37]
	v_fma_f64 v[48:49], v[16:17], s[4:5], v[54:55]
	v_fma_f64 v[16:17], v[16:17], s[0:1], v[54:55]
	v_add_f64 v[56:57], v[56:57], v[24:25]
	v_add_f64 v[74:75], v[14:15], v[22:23]
	;; [unrolled: 1-line block ×3, first 2 shown]
	v_add_f64 v[18:19], v[50:51], -v[42:43]
	v_fma_f64 v[44:45], v[26:27], -0.5, v[44:45]
	v_fma_f64 v[82:83], v[26:27], s[0:1], v[28:29]
	v_mul_f64 v[72:73], v[64:65], s[4:5]
	v_mul_f64 v[64:65], v[64:65], 0.5
	v_mul_f64 v[54:55], v[32:33], s[4:5]
	v_mul_f64 v[32:33], v[32:33], -0.5
	v_fma_f64 v[70:71], v[68:69], 0.5, v[70:71]
	v_fma_f64 v[66:67], v[68:69], s[0:1], v[66:67]
	v_fma_f64 v[68:69], v[38:39], s[4:5], v[20:21]
	;; [unrolled: 1-line block ×4, first 2 shown]
	v_add_f64 v[20:21], v[52:53], -v[62:63]
	v_add_f64 v[24:25], v[36:37], v[56:57]
	v_add_f64 v[28:29], v[36:37], -v[56:57]
	v_add_f64 v[22:23], v[34:35], v[74:75]
	;; [unrolled: 2-line block ×3, first 2 shown]
	v_add_f64 v[42:43], v[78:79], -v[44:45]
	v_fma_f64 v[72:73], v[48:49], 0.5, v[72:73]
	v_fma_f64 v[64:65], v[48:49], s[0:1], v[64:65]
	v_fma_f64 v[58:59], v[16:17], -0.5, v[54:55]
	v_fma_f64 v[88:89], v[16:17], s[0:1], v[32:33]
	v_add_f64 v[16:17], v[52:53], v[62:63]
	v_add_f64 v[30:31], v[76:77], v[70:71]
	;; [unrolled: 1-line block ×3, first 2 shown]
	v_add_f64 v[36:37], v[40:41], -v[66:67]
	v_add_f64 v[40:41], v[68:69], v[82:83]
	v_add_f64 v[34:35], v[76:77], -v[70:71]
	v_add_f64 v[44:45], v[68:69], -v[82:83]
	v_mul_u32_u24_sdwa v62, v3, v1 dst_sel:DWORD dst_unused:UNUSED_PAD src0_sel:BYTE_0 src1_sel:DWORD
	v_cmp_gt_u32_e64 s0, 0x90, v4
	v_mov_b32_e32 v82, 0x900
	v_lshlrev_b32_sdwa v3, v0, v3 dst_sel:DWORD dst_unused:UNUSED_PAD src0_sel:DWORD src1_sel:BYTE_0
	v_lshlrev_b32_e32 v13, 4, v62
	v_mul_u32_u24_sdwa v5, v5, v82 dst_sel:DWORD dst_unused:UNUSED_PAD src0_sel:WORD_0 src1_sel:DWORD
	v_add_f64 v[46:47], v[80:81], v[72:73]
	v_add_f64 v[48:49], v[84:85], v[64:65]
	;; [unrolled: 1-line block ×4, first 2 shown]
	v_add_f64 v[50:51], v[80:81], -v[72:73]
	v_add_f64 v[52:53], v[84:85], -v[64:65]
	;; [unrolled: 1-line block ×4, first 2 shown]
	ds_write_b128 v2, v[14:17]
	ds_write_b128 v2, v[18:21] offset:288
	ds_write_b128 v2, v[30:33] offset:96
	;; [unrolled: 1-line block ×5, first 2 shown]
	ds_write_b128 v11, v[22:25]
	ds_write_b128 v11, v[46:49] offset:96
	ds_write_b128 v11, v[54:57] offset:192
	;; [unrolled: 1-line block ×5, first 2 shown]
	s_waitcnt lgkmcnt(0)
	s_barrier
	buffer_gl0_inv
	s_clause 0x1
	global_load_dwordx4 v[18:21], v13, s[8:9] offset:480
	global_load_dwordx4 v[22:25], v13, s[8:9] offset:496
	v_mov_b32_e32 v2, 0xe38f
	global_load_dwordx4 v[26:29], v13, s[8:9] offset:512
	v_mov_b32_e32 v81, v9
	v_add3_u32 v3, 0, v5, v3
	v_mul_u32_u24_sdwa v15, v8, v2 dst_sel:DWORD dst_unused:UNUSED_PAD src0_sel:WORD_0 src1_sel:DWORD
	v_lshrrev_b32_e32 v14, 21, v15
	v_lshrrev_b32_e32 v15, 23, v15
	v_mul_lo_u16 v11, v14, 36
	v_sub_nc_u16 v13, v8, v11
	v_mul_u32_u24_sdwa v11, v13, v1 dst_sel:DWORD dst_unused:UNUSED_PAD src0_sel:WORD_0 src1_sel:DWORD
	v_lshlrev_b32_e32 v16, 4, v11
	s_clause 0x1
	global_load_dwordx4 v[30:33], v16, s[8:9] offset:480
	global_load_dwordx4 v[34:37], v16, s[8:9] offset:496
	v_mul_u32_u24_sdwa v11, v10, v2 dst_sel:DWORD dst_unused:UNUSED_PAD src0_sel:WORD_0 src1_sel:DWORD
	global_load_dwordx4 v[38:41], v16, s[8:9] offset:512
	v_lshrrev_b32_e32 v17, 21, v11
	v_mul_lo_u16 v2, v17, 36
	v_mul_u32_u24_e32 v17, 0x900, v17
	v_sub_nc_u16 v16, v10, v2
	v_mul_u32_u24_sdwa v2, v16, v1 dst_sel:DWORD dst_unused:UNUSED_PAD src0_sel:WORD_0 src1_sel:DWORD
	v_lshlrev_b32_sdwa v16, v0, v16 dst_sel:DWORD dst_unused:UNUSED_PAD src0_sel:DWORD src1_sel:WORD_0
	v_lshlrev_b32_e32 v2, 4, v2
	s_clause 0x2
	global_load_dwordx4 v[42:45], v2, s[8:9] offset:480
	global_load_dwordx4 v[46:49], v2, s[8:9] offset:496
	;; [unrolled: 1-line block ×3, first 2 shown]
	ds_read_b128 v[54:57], v12 offset:9216
	ds_read_b128 v[58:61], v12 offset:12288
	;; [unrolled: 1-line block ×4, first 2 shown]
	v_add_nc_u32_e32 v2, 0xffffff70, v4
	v_add3_u32 v16, 0, v17, v16
	v_cndmask_b32_e64 v2, v2, v4, s0
	v_mul_i32_i24_e32 v80, 3, v2
	v_lshlrev_b32_e32 v2, 4, v2
	s_waitcnt vmcnt(8) lgkmcnt(3)
	v_mul_f64 v[70:71], v[56:57], v[20:21]
	v_mul_f64 v[20:21], v[54:55], v[20:21]
	s_waitcnt vmcnt(7) lgkmcnt(1)
	v_mul_f64 v[72:73], v[64:65], v[24:25]
	v_mul_f64 v[24:25], v[62:63], v[24:25]
	v_fma_f64 v[54:55], v[54:55], v[18:19], v[70:71]
	v_fma_f64 v[56:57], v[56:57], v[18:19], -v[20:21]
	ds_read_b128 v[18:21], v12 offset:27648
	v_fma_f64 v[62:63], v[62:63], v[22:23], v[72:73]
	v_fma_f64 v[64:65], v[64:65], v[22:23], -v[24:25]
	ds_read_b128 v[22:25], v12 offset:30720
	s_waitcnt vmcnt(5)
	v_mul_f64 v[72:73], v[60:61], v[32:33]
	s_waitcnt lgkmcnt(1)
	v_mul_f64 v[70:71], v[20:21], v[28:29]
	v_mul_f64 v[28:29], v[18:19], v[28:29]
	v_fma_f64 v[70:71], v[18:19], v[26:27], v[70:71]
	v_fma_f64 v[74:75], v[20:21], v[26:27], -v[28:29]
	v_mul_f64 v[26:27], v[58:59], v[32:33]
	ds_read_b128 v[18:21], v12 offset:21504
	v_fma_f64 v[58:59], v[58:59], v[30:31], v[72:73]
	v_fma_f64 v[60:61], v[60:61], v[30:31], -v[26:27]
	ds_read_b128 v[26:29], v12 offset:24576
	s_waitcnt vmcnt(4) lgkmcnt(1)
	v_mul_f64 v[30:31], v[20:21], v[36:37]
	v_mul_f64 v[32:33], v[18:19], v[36:37]
	s_waitcnt vmcnt(3)
	v_mul_f64 v[36:37], v[24:25], v[40:41]
	v_fma_f64 v[72:73], v[18:19], v[34:35], v[30:31]
	v_mul_f64 v[18:19], v[22:23], v[40:41]
	s_waitcnt vmcnt(2)
	v_mul_f64 v[30:31], v[68:69], v[44:45]
	v_fma_f64 v[34:35], v[20:21], v[34:35], -v[32:33]
	v_fma_f64 v[36:37], v[22:23], v[38:39], v[36:37]
	v_mul_f64 v[32:33], v[66:67], v[44:45]
	s_waitcnt vmcnt(1) lgkmcnt(0)
	v_mul_f64 v[40:41], v[28:29], v[48:49]
	v_mul_f64 v[44:45], v[26:27], v[48:49]
	v_fma_f64 v[38:39], v[24:25], v[38:39], -v[18:19]
	ds_read_b128 v[18:21], v12 offset:33792
	ds_read_b128 v[22:25], v12
	v_fma_f64 v[48:49], v[66:67], v[42:43], v[30:31]
	v_fma_f64 v[42:43], v[68:69], v[42:43], -v[32:33]
	v_fma_f64 v[40:41], v[26:27], v[46:47], v[40:41]
	v_fma_f64 v[44:45], v[28:29], v[46:47], -v[44:45]
	ds_read_b128 v[26:29], v12 offset:3072
	ds_read_b128 v[30:33], v12 offset:6144
	s_waitcnt vmcnt(0) lgkmcnt(0)
	s_barrier
	buffer_gl0_inv
	v_mul_f64 v[66:67], v[20:21], v[52:53]
	v_mul_f64 v[52:53], v[18:19], v[52:53]
	v_add_f64 v[46:47], v[22:23], -v[62:63]
	v_add_f64 v[62:63], v[56:57], -v[74:75]
	;; [unrolled: 1-line block ×3, first 2 shown]
	v_fma_f64 v[18:19], v[18:19], v[50:51], v[66:67]
	v_fma_f64 v[20:21], v[20:21], v[50:51], -v[52:53]
	v_add_f64 v[50:51], v[24:25], -v[64:65]
	v_add_f64 v[52:53], v[54:55], -v[70:71]
	;; [unrolled: 1-line block ×7, first 2 shown]
	v_fma_f64 v[72:73], v[22:23], 2.0, -v[46:47]
	v_fma_f64 v[40:41], v[56:57], 2.0, -v[62:63]
	;; [unrolled: 1-line block ×3, first 2 shown]
	v_add_f64 v[44:45], v[48:49], -v[18:19]
	v_add_f64 v[38:39], v[42:43], -v[20:21]
	v_fma_f64 v[74:75], v[24:25], 2.0, -v[50:51]
	v_fma_f64 v[24:25], v[54:55], 2.0, -v[52:53]
	v_fma_f64 v[54:55], v[26:27], 2.0, -v[64:65]
	v_fma_f64 v[56:57], v[28:29], 2.0, -v[66:67]
	v_fma_f64 v[58:59], v[58:59], 2.0, -v[34:35]
	v_fma_f64 v[60:61], v[60:61], 2.0, -v[36:37]
	v_fma_f64 v[78:79], v[32:33], 2.0, -v[70:71]
	v_add_f64 v[18:19], v[46:47], v[62:63]
	v_add_f64 v[20:21], v[50:51], -v[52:53]
	v_add_f64 v[22:23], v[64:65], v[36:37]
	v_fma_f64 v[48:49], v[48:49], 2.0, -v[44:45]
	v_fma_f64 v[42:43], v[42:43], 2.0, -v[38:39]
	v_add_f64 v[28:29], v[74:75], -v[40:41]
	v_add_f64 v[26:27], v[72:73], -v[24:25]
	;; [unrolled: 1-line block ×3, first 2 shown]
	v_add_f64 v[34:35], v[68:69], v[38:39]
	v_add_f64 v[30:31], v[54:55], -v[58:59]
	v_add_f64 v[32:33], v[56:57], -v[60:61]
	;; [unrolled: 1-line block ×3, first 2 shown]
	v_fma_f64 v[44:45], v[50:51], 2.0, -v[20:21]
	v_add_f64 v[38:39], v[76:77], -v[48:49]
	v_add_f64 v[40:41], v[78:79], -v[42:43]
	v_lshlrev_b64 v[42:43], 4, v[80:81]
	v_fma_f64 v[50:51], v[72:73], 2.0, -v[26:27]
	v_fma_f64 v[52:53], v[74:75], 2.0, -v[28:29]
	;; [unrolled: 1-line block ×5, first 2 shown]
	v_add_co_u32 v82, s0, s8, v42
	v_add_co_ci_u32_e64 v83, s0, s9, v43, s0
	v_fma_f64 v[42:43], v[46:47], 2.0, -v[18:19]
	v_fma_f64 v[46:47], v[64:65], 2.0, -v[22:23]
	;; [unrolled: 1-line block ×4, first 2 shown]
	v_lshlrev_b32_sdwa v66, v0, v13 dst_sel:DWORD dst_unused:UNUSED_PAD src0_sel:DWORD src1_sel:WORD_0
	v_add_co_u32 v13, s0, 0x800, v82
	v_mul_u32_u24_e32 v80, 0x900, v14
	v_add_co_ci_u32_e64 v14, s0, 0, v83, s0
	v_fma_f64 v[62:63], v[76:77], 2.0, -v[38:39]
	v_fma_f64 v[64:65], v[78:79], 2.0, -v[40:41]
	v_mul_lo_u16 v81, 0x90, v15
	v_add3_u32 v5, 0, v80, v66
	ds_write_b128 v3, v[18:21] offset:1728
	ds_write_b128 v3, v[42:45] offset:576
	ds_write_b128 v3, v[26:29] offset:1152
	ds_write_b128 v3, v[50:53]
	ds_write_b128 v5, v[54:57]
	ds_write_b128 v5, v[46:49] offset:576
	ds_write_b128 v5, v[30:33] offset:1152
	ds_write_b128 v5, v[22:25] offset:1728
	ds_write_b128 v16, v[62:65]
	ds_write_b128 v16, v[58:61] offset:576
	ds_write_b128 v16, v[38:41] offset:1152
	;; [unrolled: 1-line block ×3, first 2 shown]
	s_waitcnt lgkmcnt(0)
	s_barrier
	buffer_gl0_inv
	global_load_dwordx4 v[16:19], v[13:14], off offset:160
	v_add_co_u32 v13, s0, 0x8a0, v82
	v_add_co_ci_u32_e64 v14, s0, 0, v83, s0
	v_sub_nc_u16 v3, v8, v81
	v_lshrrev_b32_e32 v78, 23, v11
	s_clause 0x1
	global_load_dwordx4 v[20:23], v[13:14], off offset:16
	global_load_dwordx4 v[24:27], v[13:14], off offset:32
	v_mul_u32_u24_sdwa v5, v3, v1 dst_sel:DWORD dst_unused:UNUSED_PAD src0_sel:WORD_0 src1_sel:DWORD
	v_mul_lo_u16 v11, 0x90, v78
	v_lshlrev_b32_sdwa v3, v0, v3 dst_sel:DWORD dst_unused:UNUSED_PAD src0_sel:DWORD src1_sel:WORD_0
	v_lshlrev_b32_e32 v5, 4, v5
	v_add_co_u32 v5, s0, s8, v5
	v_add_co_ci_u32_e64 v8, null, s9, 0, s0
	v_add_co_u32 v13, s0, 0x800, v5
	v_add_co_ci_u32_e64 v14, s0, 0, v8, s0
	global_load_dwordx4 v[28:31], v[13:14], off offset:160
	v_add_co_u32 v13, s0, 0x8a0, v5
	v_sub_nc_u16 v5, v10, v11
	v_add_co_ci_u32_e64 v14, s0, 0, v8, s0
	v_mul_u32_u24_sdwa v1, v5, v1 dst_sel:DWORD dst_unused:UNUSED_PAD src0_sel:WORD_0 src1_sel:DWORD
	s_clause 0x1
	global_load_dwordx4 v[32:35], v[13:14], off offset:16
	global_load_dwordx4 v[36:39], v[13:14], off offset:32
	v_lshlrev_b32_sdwa v5, v0, v5 dst_sel:DWORD dst_unused:UNUSED_PAD src0_sel:DWORD src1_sel:WORD_0
	v_lshlrev_b32_e32 v1, 4, v1
	v_add_co_u32 v1, s0, s8, v1
	v_add_co_ci_u32_e64 v8, null, s9, 0, s0
	v_add_co_u32 v10, s0, 0x800, v1
	v_add_co_ci_u32_e64 v11, s0, 0, v8, s0
	v_add_co_u32 v13, s0, 0x8a0, v1
	v_add_co_ci_u32_e64 v14, s0, 0, v8, s0
	s_clause 0x2
	global_load_dwordx4 v[40:43], v[10:11], off offset:160
	global_load_dwordx4 v[44:47], v[13:14], off offset:16
	;; [unrolled: 1-line block ×3, first 2 shown]
	ds_read_b128 v[52:55], v12 offset:9216
	ds_read_b128 v[56:59], v12 offset:18432
	;; [unrolled: 1-line block ×5, first 2 shown]
	v_mul_u32_u24_e32 v1, 3, v4
	v_cmp_lt_u32_e64 s0, 0x8f, v4
	v_lshlrev_b32_e32 v1, 4, v1
	v_cndmask_b32_e64 v8, 0, 0x2400, s0
	v_add3_u32 v2, 0, v8, v2
	v_mul_u32_u24_e32 v8, 0x2400, v15
	v_add3_u32 v3, 0, v8, v3
	s_waitcnt vmcnt(8) lgkmcnt(4)
	v_mul_f64 v[10:11], v[54:55], v[18:19]
	v_mul_f64 v[13:14], v[52:53], v[18:19]
	s_waitcnt vmcnt(7) lgkmcnt(3)
	v_mul_f64 v[72:73], v[58:59], v[22:23]
	v_mul_f64 v[22:23], v[56:57], v[22:23]
	v_fma_f64 v[10:11], v[52:53], v[16:17], v[10:11]
	s_waitcnt vmcnt(6) lgkmcnt(0)
	v_mul_f64 v[52:53], v[70:71], v[26:27]
	v_mul_f64 v[26:27], v[68:69], v[26:27]
	v_fma_f64 v[13:14], v[54:55], v[16:17], -v[13:14]
	ds_read_b128 v[16:19], v12 offset:30720
	v_fma_f64 v[54:55], v[56:57], v[20:21], v[72:73]
	v_fma_f64 v[56:57], v[58:59], v[20:21], -v[22:23]
	s_waitcnt vmcnt(5)
	v_mul_f64 v[58:59], v[62:63], v[30:31]
	v_mul_f64 v[30:31], v[60:61], v[30:31]
	ds_read_b128 v[20:23], v12 offset:21504
	v_fma_f64 v[52:53], v[68:69], v[24:25], v[52:53]
	v_fma_f64 v[68:69], v[70:71], v[24:25], -v[26:27]
	ds_read_b128 v[24:27], v12 offset:24576
	s_waitcnt vmcnt(4) lgkmcnt(1)
	v_mul_f64 v[70:71], v[22:23], v[34:35]
	v_mul_f64 v[34:35], v[20:21], v[34:35]
	v_fma_f64 v[58:59], v[60:61], v[28:29], v[58:59]
	v_fma_f64 v[60:61], v[62:63], v[28:29], -v[30:31]
	s_waitcnt vmcnt(3)
	v_mul_f64 v[62:63], v[18:19], v[38:39]
	v_mul_f64 v[38:39], v[16:17], v[38:39]
	ds_read_b128 v[28:31], v12 offset:33792
	v_fma_f64 v[70:71], v[20:21], v[32:33], v[70:71]
	v_fma_f64 v[72:73], v[22:23], v[32:33], -v[34:35]
	ds_read_b128 v[20:23], v12
	s_waitcnt vmcnt(2)
	v_mul_f64 v[32:33], v[66:67], v[42:43]
	v_mul_f64 v[34:35], v[64:65], v[42:43]
	v_fma_f64 v[42:43], v[16:17], v[36:37], v[62:63]
	v_fma_f64 v[36:37], v[18:19], v[36:37], -v[38:39]
	s_waitcnt vmcnt(1) lgkmcnt(2)
	v_mul_f64 v[38:39], v[26:27], v[46:47]
	v_mul_f64 v[46:47], v[24:25], v[46:47]
	s_waitcnt vmcnt(0) lgkmcnt(1)
	v_mul_f64 v[62:63], v[30:31], v[50:51]
	v_mul_f64 v[50:51], v[28:29], v[50:51]
	v_fma_f64 v[64:65], v[64:65], v[40:41], v[32:33]
	v_fma_f64 v[40:41], v[66:67], v[40:41], -v[34:35]
	ds_read_b128 v[16:19], v12 offset:3072
	ds_read_b128 v[32:35], v12 offset:6144
	v_add_f64 v[42:43], v[58:59], -v[42:43]
	v_fma_f64 v[24:25], v[24:25], v[44:45], v[38:39]
	v_fma_f64 v[26:27], v[26:27], v[44:45], -v[46:47]
	v_fma_f64 v[28:29], v[28:29], v[48:49], v[62:63]
	v_fma_f64 v[30:31], v[30:31], v[48:49], -v[50:51]
	s_waitcnt lgkmcnt(2)
	v_add_f64 v[44:45], v[20:21], -v[54:55]
	v_add_f64 v[46:47], v[22:23], -v[56:57]
	;; [unrolled: 1-line block ×5, first 2 shown]
	s_waitcnt lgkmcnt(0)
	s_barrier
	buffer_gl0_inv
	v_add_f64 v[50:51], v[16:17], -v[70:71]
	v_add_f64 v[56:57], v[18:19], -v[72:73]
	;; [unrolled: 1-line block ×6, first 2 shown]
	v_fma_f64 v[68:69], v[20:21], 2.0, -v[44:45]
	v_fma_f64 v[70:71], v[22:23], 2.0, -v[46:47]
	;; [unrolled: 1-line block ×8, first 2 shown]
	v_add_f64 v[16:17], v[44:45], v[48:49]
	v_add_f64 v[18:19], v[46:47], -v[38:39]
	v_add_f64 v[20:21], v[50:51], v[36:37]
	v_fma_f64 v[58:59], v[32:33], 2.0, -v[62:63]
	v_fma_f64 v[76:77], v[34:35], 2.0, -v[66:67]
	;; [unrolled: 1-line block ×4, first 2 shown]
	v_add_f64 v[32:33], v[62:63], v[54:55]
	v_add_co_u32 v64, s0, s8, v1
	v_add_f64 v[24:25], v[68:69], -v[10:11]
	v_add_f64 v[26:27], v[70:71], -v[13:14]
	v_add_co_ci_u32_e64 v65, null, s9, 0, s0
	v_add_co_u32 v0, s0, 0x2000, v64
	v_mul_u32_u24_e32 v10, 0x2400, v78
	v_add_co_ci_u32_e64 v1, s0, 0, v65, s0
	v_add_f64 v[28:29], v[72:73], -v[22:23]
	v_add_f64 v[30:31], v[74:75], -v[30:31]
	;; [unrolled: 1-line block ×3, first 2 shown]
	v_fma_f64 v[42:43], v[46:47], 2.0, -v[18:19]
	v_add3_u32 v5, 0, v10, v5
	v_add_co_u32 v10, s0, 0x23a0, v64
	v_add_f64 v[36:37], v[58:59], -v[34:35]
	v_add_f64 v[38:39], v[76:77], -v[40:41]
	;; [unrolled: 1-line block ×3, first 2 shown]
	v_fma_f64 v[40:41], v[44:45], 2.0, -v[16:17]
	v_fma_f64 v[44:45], v[50:51], 2.0, -v[20:21]
	;; [unrolled: 1-line block ×4, first 2 shown]
	v_add_co_ci_u32_e64 v11, s0, 0, v65, s0
	v_fma_f64 v[52:53], v[72:73], 2.0, -v[28:29]
	v_fma_f64 v[54:55], v[74:75], 2.0, -v[30:31]
	;; [unrolled: 1-line block ×7, first 2 shown]
	ds_write_b128 v2, v[16:19] offset:6912
	ds_write_b128 v2, v[40:43] offset:2304
	;; [unrolled: 1-line block ×3, first 2 shown]
	ds_write_b128 v2, v[48:51]
	ds_write_b128 v3, v[52:55]
	ds_write_b128 v3, v[44:47] offset:2304
	ds_write_b128 v3, v[28:31] offset:4608
	;; [unrolled: 1-line block ×3, first 2 shown]
	ds_write_b128 v5, v[60:63]
	ds_write_b128 v5, v[56:59] offset:2304
	ds_write_b128 v5, v[36:39] offset:4608
	;; [unrolled: 1-line block ×3, first 2 shown]
	s_waitcnt lgkmcnt(0)
	s_barrier
	buffer_gl0_inv
	s_clause 0x2
	global_load_dwordx4 v[0:3], v[0:1], off offset:928
	global_load_dwordx4 v[13:16], v[10:11], off offset:16
	;; [unrolled: 1-line block ×3, first 2 shown]
	v_add_co_u32 v10, s0, 0x4000, v64
	v_add_co_ci_u32_e64 v11, s0, 0, v65, s0
	global_load_dwordx4 v[21:24], v[10:11], off offset:1952
	v_add_co_u32 v10, s0, 0x47a0, v64
	v_add_co_ci_u32_e64 v11, s0, 0, v65, s0
	s_clause 0x1
	global_load_dwordx4 v[25:28], v[10:11], off offset:16
	global_load_dwordx4 v[29:32], v[10:11], off offset:32
	v_add_co_u32 v10, s0, 0x6800, v64
	v_add_co_ci_u32_e64 v11, s0, 0, v65, s0
	v_add_co_u32 v41, s0, 0x6ba0, v64
	v_add_co_ci_u32_e64 v42, s0, 0, v65, s0
	s_clause 0x2
	global_load_dwordx4 v[33:36], v[10:11], off offset:928
	global_load_dwordx4 v[37:40], v[41:42], off offset:16
	;; [unrolled: 1-line block ×3, first 2 shown]
	ds_read_b128 v[45:48], v12 offset:9216
	ds_read_b128 v[49:52], v12 offset:18432
	;; [unrolled: 1-line block ×6, first 2 shown]
	s_waitcnt vmcnt(7) lgkmcnt(4)
	v_mul_f64 v[69:70], v[51:52], v[15:16]
	v_mul_f64 v[10:11], v[47:48], v[2:3]
	;; [unrolled: 1-line block ×4, first 2 shown]
	s_waitcnt vmcnt(6) lgkmcnt(3)
	v_mul_f64 v[71:72], v[55:56], v[19:20]
	v_mul_f64 v[19:20], v[53:54], v[19:20]
	v_fma_f64 v[49:50], v[49:50], v[13:14], v[69:70]
	v_fma_f64 v[10:11], v[45:46], v[0:1], v[10:11]
	v_fma_f64 v[45:46], v[47:48], v[0:1], -v[2:3]
	ds_read_b128 v[0:3], v12 offset:21504
	s_waitcnt vmcnt(5) lgkmcnt(3)
	v_mul_f64 v[47:48], v[59:60], v[23:24]
	v_mul_f64 v[23:24], v[57:58], v[23:24]
	v_fma_f64 v[51:52], v[51:52], v[13:14], -v[15:16]
	ds_read_b128 v[13:16], v12 offset:24576
	v_fma_f64 v[53:54], v[53:54], v[17:18], v[71:72]
	s_waitcnt vmcnt(3) lgkmcnt(2)
	v_mul_f64 v[71:72], v[67:68], v[31:32]
	v_mul_f64 v[31:32], v[65:66], v[31:32]
	v_fma_f64 v[55:56], v[55:56], v[17:18], -v[19:20]
	s_waitcnt lgkmcnt(1)
	v_mul_f64 v[69:70], v[2:3], v[27:28]
	v_mul_f64 v[27:28], v[0:1], v[27:28]
	v_fma_f64 v[47:48], v[57:58], v[21:22], v[47:48]
	v_fma_f64 v[57:58], v[59:60], v[21:22], -v[23:24]
	ds_read_b128 v[17:20], v12 offset:33792
	ds_read_b128 v[21:24], v12
	s_waitcnt vmcnt(2)
	v_mul_f64 v[59:60], v[63:64], v[35:36]
	v_fma_f64 v[65:66], v[65:66], v[29:30], v[71:72]
	v_fma_f64 v[29:30], v[67:68], v[29:30], -v[31:32]
	v_fma_f64 v[69:70], v[0:1], v[25:26], v[69:70]
	v_mul_f64 v[0:1], v[61:62], v[35:36]
	s_waitcnt vmcnt(1) lgkmcnt(2)
	v_mul_f64 v[35:36], v[15:16], v[39:40]
	v_mul_f64 v[39:40], v[13:14], v[39:40]
	s_waitcnt vmcnt(0) lgkmcnt(1)
	v_mul_f64 v[75:76], v[19:20], v[43:44]
	v_mul_f64 v[31:32], v[17:18], v[43:44]
	v_fma_f64 v[73:74], v[2:3], v[25:26], -v[27:28]
	v_fma_f64 v[43:44], v[61:62], v[33:34], v[59:60]
	v_add_f64 v[29:30], v[57:58], -v[29:30]
	v_fma_f64 v[33:34], v[63:64], v[33:34], -v[0:1]
	v_fma_f64 v[13:14], v[13:14], v[37:38], v[35:36]
	v_fma_f64 v[15:16], v[15:16], v[37:38], -v[39:40]
	v_fma_f64 v[17:18], v[17:18], v[41:42], v[75:76]
	v_fma_f64 v[19:20], v[19:20], v[41:42], -v[31:32]
	ds_read_b128 v[0:3], v12 offset:3072
	ds_read_b128 v[25:28], v12 offset:6144
	s_waitcnt lgkmcnt(2)
	v_add_f64 v[35:36], v[21:22], -v[49:50]
	v_add_f64 v[37:38], v[23:24], -v[51:52]
	;; [unrolled: 1-line block ×5, first 2 shown]
	s_waitcnt lgkmcnt(0)
	s_barrier
	buffer_gl0_inv
	v_add_f64 v[41:42], v[0:1], -v[69:70]
	v_add_f64 v[49:50], v[2:3], -v[73:74]
	;; [unrolled: 1-line block ×6, first 2 shown]
	v_fma_f64 v[61:62], v[21:22], 2.0, -v[35:36]
	v_fma_f64 v[63:64], v[23:24], 2.0, -v[37:38]
	;; [unrolled: 1-line block ×12, first 2 shown]
	v_add_f64 v[0:1], v[35:36], v[39:40]
	v_add_f64 v[2:3], v[37:38], -v[31:32]
	v_add_f64 v[13:14], v[41:42], v[29:30]
	v_add_f64 v[15:16], v[49:50], -v[51:52]
	;; [unrolled: 2-line block ×3, first 2 shown]
	v_add_f64 v[21:22], v[61:62], -v[10:11]
	v_add_f64 v[23:24], v[63:64], -v[23:24]
	v_add_f64 v[25:26], v[65:66], -v[45:46]
	v_add_f64 v[27:28], v[67:68], -v[47:48]
	v_add_f64 v[29:30], v[57:58], -v[43:44]
	v_add_f64 v[31:32], v[69:70], -v[33:34]
	v_fma_f64 v[33:34], v[35:36], 2.0, -v[0:1]
	v_fma_f64 v[35:36], v[37:38], 2.0, -v[2:3]
	;; [unrolled: 1-line block ×12, first 2 shown]
	ds_write_b128 v12, v[0:3] offset:27648
	ds_write_b128 v12, v[13:16] offset:30720
	;; [unrolled: 1-line block ×9, first 2 shown]
	ds_write_b128 v12, v[45:48]
	ds_write_b128 v12, v[49:52] offset:3072
	ds_write_b128 v12, v[53:56] offset:6144
	s_waitcnt lgkmcnt(0)
	s_barrier
	buffer_gl0_inv
	s_and_saveexec_b32 s0, vcc_lo
	s_cbranch_execz .LBB0_19
; %bb.18:
	v_lshl_add_u32 v34, v4, 4, 0
	v_mov_b32_e32 v5, v9
	v_add_nc_u32_e32 v8, 0xc0, v4
	v_add_co_u32 v35, vcc_lo, s2, v6
	ds_read_b128 v[0:3], v34
	ds_read_b128 v[10:13], v34 offset:3072
	ds_read_b128 v[14:17], v34 offset:6144
	v_lshlrev_b64 v[5:6], 4, v[4:5]
	v_lshlrev_b64 v[18:19], 4, v[8:9]
	v_add_nc_u32_e32 v8, 0x180, v4
	v_add_co_ci_u32_e32 v36, vcc_lo, s3, v7, vcc_lo
	v_add_co_u32 v5, vcc_lo, v35, v5
	v_lshlrev_b64 v[20:21], 4, v[8:9]
	v_add_co_ci_u32_e32 v6, vcc_lo, v36, v6, vcc_lo
	v_add_nc_u32_e32 v8, 0x240, v4
	v_add_co_u32 v22, vcc_lo, v35, v18
	v_add_co_ci_u32_e32 v23, vcc_lo, v36, v19, vcc_lo
	v_add_co_u32 v24, vcc_lo, v35, v20
	v_lshlrev_b64 v[26:27], 4, v[8:9]
	v_add_nc_u32_e32 v8, 0x300, v4
	v_add_co_ci_u32_e32 v25, vcc_lo, v36, v21, vcc_lo
	ds_read_b128 v[18:21], v34 offset:33792
	s_waitcnt lgkmcnt(3)
	global_store_dwordx4 v[5:6], v[0:3], off
	s_waitcnt lgkmcnt(2)
	global_store_dwordx4 v[22:23], v[10:13], off
	;; [unrolled: 2-line block ×3, first 2 shown]
	v_lshlrev_b64 v[5:6], 4, v[8:9]
	v_add_nc_u32_e32 v8, 0x3c0, v4
	ds_read_b128 v[0:3], v34 offset:9216
	ds_read_b128 v[10:13], v34 offset:12288
	ds_read_b128 v[14:17], v34 offset:15360
	ds_read_b128 v[22:25], v34 offset:18432
	v_add_co_u32 v26, vcc_lo, v35, v26
	v_lshlrev_b64 v[28:29], 4, v[8:9]
	v_add_nc_u32_e32 v8, 0x480, v4
	v_add_co_ci_u32_e32 v27, vcc_lo, v36, v27, vcc_lo
	v_add_co_u32 v5, vcc_lo, v35, v5
	v_lshlrev_b64 v[30:31], 4, v[8:9]
	v_add_nc_u32_e32 v8, 0x540, v4
	v_add_co_ci_u32_e32 v6, vcc_lo, v36, v6, vcc_lo
	v_add_co_u32 v28, vcc_lo, v35, v28
	v_add_co_ci_u32_e32 v29, vcc_lo, v36, v29, vcc_lo
	v_lshlrev_b64 v[32:33], 4, v[8:9]
	v_add_nc_u32_e32 v8, 0x600, v4
	v_add_co_u32 v30, vcc_lo, v35, v30
	v_add_co_ci_u32_e32 v31, vcc_lo, v36, v31, vcc_lo
	s_waitcnt lgkmcnt(3)
	global_store_dwordx4 v[26:27], v[0:3], off
	s_waitcnt lgkmcnt(2)
	global_store_dwordx4 v[5:6], v[10:13], off
	;; [unrolled: 2-line block ×4, first 2 shown]
	v_lshlrev_b64 v[5:6], 4, v[8:9]
	v_add_nc_u32_e32 v8, 0x6c0, v4
	ds_read_b128 v[0:3], v34 offset:21504
	ds_read_b128 v[10:13], v34 offset:24576
	;; [unrolled: 1-line block ×4, first 2 shown]
	v_add_co_u32 v26, vcc_lo, v35, v32
	v_lshlrev_b64 v[28:29], 4, v[8:9]
	v_add_nc_u32_e32 v8, 0x780, v4
	v_add_co_ci_u32_e32 v27, vcc_lo, v36, v33, vcc_lo
	v_add_co_u32 v5, vcc_lo, v35, v5
	v_lshlrev_b64 v[30:31], 4, v[8:9]
	v_add_nc_u32_e32 v8, 0x840, v4
	v_add_co_ci_u32_e32 v6, vcc_lo, v36, v6, vcc_lo
	v_add_co_u32 v28, vcc_lo, v35, v28
	v_lshlrev_b64 v[7:8], 4, v[8:9]
	v_add_co_ci_u32_e32 v29, vcc_lo, v36, v29, vcc_lo
	v_add_co_u32 v30, vcc_lo, v35, v30
	v_add_co_ci_u32_e32 v31, vcc_lo, v36, v31, vcc_lo
	v_add_co_u32 v7, vcc_lo, v35, v7
	v_add_co_ci_u32_e32 v8, vcc_lo, v36, v8, vcc_lo
	s_waitcnt lgkmcnt(3)
	global_store_dwordx4 v[26:27], v[0:3], off
	s_waitcnt lgkmcnt(2)
	global_store_dwordx4 v[5:6], v[10:13], off
	;; [unrolled: 2-line block ×4, first 2 shown]
	global_store_dwordx4 v[7:8], v[18:21], off
.LBB0_19:
	s_endpgm
	.section	.rodata,"a",@progbits
	.p2align	6, 0x0
	.amdhsa_kernel fft_rtc_back_len2304_factors_6_6_4_4_4_wgs_192_tpt_192_halfLds_dp_ip_CI_unitstride_sbrr_C2R_dirReg
		.amdhsa_group_segment_fixed_size 0
		.amdhsa_private_segment_fixed_size 0
		.amdhsa_kernarg_size 88
		.amdhsa_user_sgpr_count 6
		.amdhsa_user_sgpr_private_segment_buffer 1
		.amdhsa_user_sgpr_dispatch_ptr 0
		.amdhsa_user_sgpr_queue_ptr 0
		.amdhsa_user_sgpr_kernarg_segment_ptr 1
		.amdhsa_user_sgpr_dispatch_id 0
		.amdhsa_user_sgpr_flat_scratch_init 0
		.amdhsa_user_sgpr_private_segment_size 0
		.amdhsa_wavefront_size32 1
		.amdhsa_uses_dynamic_stack 0
		.amdhsa_system_sgpr_private_segment_wavefront_offset 0
		.amdhsa_system_sgpr_workgroup_id_x 1
		.amdhsa_system_sgpr_workgroup_id_y 0
		.amdhsa_system_sgpr_workgroup_id_z 0
		.amdhsa_system_sgpr_workgroup_info 0
		.amdhsa_system_vgpr_workitem_id 0
		.amdhsa_next_free_vgpr 91
		.amdhsa_next_free_sgpr 21
		.amdhsa_reserve_vcc 1
		.amdhsa_reserve_flat_scratch 0
		.amdhsa_float_round_mode_32 0
		.amdhsa_float_round_mode_16_64 0
		.amdhsa_float_denorm_mode_32 3
		.amdhsa_float_denorm_mode_16_64 3
		.amdhsa_dx10_clamp 1
		.amdhsa_ieee_mode 1
		.amdhsa_fp16_overflow 0
		.amdhsa_workgroup_processor_mode 1
		.amdhsa_memory_ordered 1
		.amdhsa_forward_progress 0
		.amdhsa_shared_vgpr_count 0
		.amdhsa_exception_fp_ieee_invalid_op 0
		.amdhsa_exception_fp_denorm_src 0
		.amdhsa_exception_fp_ieee_div_zero 0
		.amdhsa_exception_fp_ieee_overflow 0
		.amdhsa_exception_fp_ieee_underflow 0
		.amdhsa_exception_fp_ieee_inexact 0
		.amdhsa_exception_int_div_zero 0
	.end_amdhsa_kernel
	.text
.Lfunc_end0:
	.size	fft_rtc_back_len2304_factors_6_6_4_4_4_wgs_192_tpt_192_halfLds_dp_ip_CI_unitstride_sbrr_C2R_dirReg, .Lfunc_end0-fft_rtc_back_len2304_factors_6_6_4_4_4_wgs_192_tpt_192_halfLds_dp_ip_CI_unitstride_sbrr_C2R_dirReg
                                        ; -- End function
	.section	.AMDGPU.csdata,"",@progbits
; Kernel info:
; codeLenInByte = 10024
; NumSgprs: 23
; NumVgprs: 91
; ScratchSize: 0
; MemoryBound: 0
; FloatMode: 240
; IeeeMode: 1
; LDSByteSize: 0 bytes/workgroup (compile time only)
; SGPRBlocks: 2
; VGPRBlocks: 11
; NumSGPRsForWavesPerEU: 23
; NumVGPRsForWavesPerEU: 91
; Occupancy: 10
; WaveLimiterHint : 1
; COMPUTE_PGM_RSRC2:SCRATCH_EN: 0
; COMPUTE_PGM_RSRC2:USER_SGPR: 6
; COMPUTE_PGM_RSRC2:TRAP_HANDLER: 0
; COMPUTE_PGM_RSRC2:TGID_X_EN: 1
; COMPUTE_PGM_RSRC2:TGID_Y_EN: 0
; COMPUTE_PGM_RSRC2:TGID_Z_EN: 0
; COMPUTE_PGM_RSRC2:TIDIG_COMP_CNT: 0
	.text
	.p2alignl 6, 3214868480
	.fill 48, 4, 3214868480
	.type	__hip_cuid_d6abdff2c6dff910,@object ; @__hip_cuid_d6abdff2c6dff910
	.section	.bss,"aw",@nobits
	.globl	__hip_cuid_d6abdff2c6dff910
__hip_cuid_d6abdff2c6dff910:
	.byte	0                               ; 0x0
	.size	__hip_cuid_d6abdff2c6dff910, 1

	.ident	"AMD clang version 19.0.0git (https://github.com/RadeonOpenCompute/llvm-project roc-6.4.0 25133 c7fe45cf4b819c5991fe208aaa96edf142730f1d)"
	.section	".note.GNU-stack","",@progbits
	.addrsig
	.addrsig_sym __hip_cuid_d6abdff2c6dff910
	.amdgpu_metadata
---
amdhsa.kernels:
  - .args:
      - .actual_access:  read_only
        .address_space:  global
        .offset:         0
        .size:           8
        .value_kind:     global_buffer
      - .offset:         8
        .size:           8
        .value_kind:     by_value
      - .actual_access:  read_only
        .address_space:  global
        .offset:         16
        .size:           8
        .value_kind:     global_buffer
      - .actual_access:  read_only
        .address_space:  global
        .offset:         24
        .size:           8
        .value_kind:     global_buffer
      - .offset:         32
        .size:           8
        .value_kind:     by_value
      - .actual_access:  read_only
        .address_space:  global
        .offset:         40
        .size:           8
        .value_kind:     global_buffer
      - .actual_access:  read_only
        .address_space:  global
        .offset:         48
        .size:           8
        .value_kind:     global_buffer
      - .offset:         56
        .size:           4
        .value_kind:     by_value
      - .actual_access:  read_only
        .address_space:  global
        .offset:         64
        .size:           8
        .value_kind:     global_buffer
      - .actual_access:  read_only
        .address_space:  global
        .offset:         72
        .size:           8
        .value_kind:     global_buffer
      - .address_space:  global
        .offset:         80
        .size:           8
        .value_kind:     global_buffer
    .group_segment_fixed_size: 0
    .kernarg_segment_align: 8
    .kernarg_segment_size: 88
    .language:       OpenCL C
    .language_version:
      - 2
      - 0
    .max_flat_workgroup_size: 192
    .name:           fft_rtc_back_len2304_factors_6_6_4_4_4_wgs_192_tpt_192_halfLds_dp_ip_CI_unitstride_sbrr_C2R_dirReg
    .private_segment_fixed_size: 0
    .sgpr_count:     23
    .sgpr_spill_count: 0
    .symbol:         fft_rtc_back_len2304_factors_6_6_4_4_4_wgs_192_tpt_192_halfLds_dp_ip_CI_unitstride_sbrr_C2R_dirReg.kd
    .uniform_work_group_size: 1
    .uses_dynamic_stack: false
    .vgpr_count:     91
    .vgpr_spill_count: 0
    .wavefront_size: 32
    .workgroup_processor_mode: 1
amdhsa.target:   amdgcn-amd-amdhsa--gfx1030
amdhsa.version:
  - 1
  - 2
...

	.end_amdgpu_metadata
